;; amdgpu-corpus repo=ROCm/rocFFT kind=compiled arch=gfx1201 opt=O3
	.text
	.amdgcn_target "amdgcn-amd-amdhsa--gfx1201"
	.amdhsa_code_object_version 6
	.protected	fft_rtc_fwd_len1040_factors_13_16_5_wgs_208_tpt_208_halfLds_dp_ip_CI_unitstride_sbrr_dirReg ; -- Begin function fft_rtc_fwd_len1040_factors_13_16_5_wgs_208_tpt_208_halfLds_dp_ip_CI_unitstride_sbrr_dirReg
	.globl	fft_rtc_fwd_len1040_factors_13_16_5_wgs_208_tpt_208_halfLds_dp_ip_CI_unitstride_sbrr_dirReg
	.p2align	8
	.type	fft_rtc_fwd_len1040_factors_13_16_5_wgs_208_tpt_208_halfLds_dp_ip_CI_unitstride_sbrr_dirReg,@function
fft_rtc_fwd_len1040_factors_13_16_5_wgs_208_tpt_208_halfLds_dp_ip_CI_unitstride_sbrr_dirReg: ; @fft_rtc_fwd_len1040_factors_13_16_5_wgs_208_tpt_208_halfLds_dp_ip_CI_unitstride_sbrr_dirReg
; %bb.0:
	s_clause 0x2
	s_load_b128 s[4:7], s[0:1], 0x0
	s_load_b64 s[8:9], s[0:1], 0x50
	s_load_b64 s[10:11], s[0:1], 0x18
	v_mul_u32_u24_e32 v1, 0x13c, v0
	v_mov_b32_e32 v3, 0
	s_delay_alu instid0(VALU_DEP_2) | instskip(NEXT) | instid1(VALU_DEP_1)
	v_lshrrev_b32_e32 v1, 16, v1
	v_add_nc_u32_e32 v5, ttmp9, v1
	v_mov_b32_e32 v1, 0
	v_mov_b32_e32 v2, 0
	;; [unrolled: 1-line block ×3, first 2 shown]
	s_wait_kmcnt 0x0
	v_cmp_lt_u64_e64 s2, s[6:7], 2
	s_delay_alu instid0(VALU_DEP_1)
	s_and_b32 vcc_lo, exec_lo, s2
	s_cbranch_vccnz .LBB0_8
; %bb.1:
	s_load_b64 s[2:3], s[0:1], 0x10
	v_mov_b32_e32 v1, 0
	v_mov_b32_e32 v2, 0
	s_add_nc_u64 s[12:13], s[10:11], 8
	s_mov_b64 s[14:15], 1
	s_wait_kmcnt 0x0
	s_add_nc_u64 s[16:17], s[2:3], 8
	s_mov_b32 s3, 0
.LBB0_2:                                ; =>This Inner Loop Header: Depth=1
	s_load_b64 s[18:19], s[16:17], 0x0
                                        ; implicit-def: $vgpr7_vgpr8
	s_mov_b32 s2, exec_lo
	s_wait_kmcnt 0x0
	v_or_b32_e32 v4, s19, v6
	s_delay_alu instid0(VALU_DEP_1)
	v_cmpx_ne_u64_e32 0, v[3:4]
	s_wait_alu 0xfffe
	s_xor_b32 s20, exec_lo, s2
	s_cbranch_execz .LBB0_4
; %bb.3:                                ;   in Loop: Header=BB0_2 Depth=1
	s_cvt_f32_u32 s2, s18
	s_cvt_f32_u32 s21, s19
	s_sub_nc_u64 s[24:25], 0, s[18:19]
	s_wait_alu 0xfffe
	s_delay_alu instid0(SALU_CYCLE_1) | instskip(SKIP_1) | instid1(SALU_CYCLE_2)
	s_fmamk_f32 s2, s21, 0x4f800000, s2
	s_wait_alu 0xfffe
	v_s_rcp_f32 s2, s2
	s_delay_alu instid0(TRANS32_DEP_1) | instskip(SKIP_1) | instid1(SALU_CYCLE_2)
	s_mul_f32 s2, s2, 0x5f7ffffc
	s_wait_alu 0xfffe
	s_mul_f32 s21, s2, 0x2f800000
	s_wait_alu 0xfffe
	s_delay_alu instid0(SALU_CYCLE_2) | instskip(SKIP_1) | instid1(SALU_CYCLE_2)
	s_trunc_f32 s21, s21
	s_wait_alu 0xfffe
	s_fmamk_f32 s2, s21, 0xcf800000, s2
	s_cvt_u32_f32 s23, s21
	s_wait_alu 0xfffe
	s_delay_alu instid0(SALU_CYCLE_1) | instskip(SKIP_1) | instid1(SALU_CYCLE_2)
	s_cvt_u32_f32 s22, s2
	s_wait_alu 0xfffe
	s_mul_u64 s[26:27], s[24:25], s[22:23]
	s_wait_alu 0xfffe
	s_mul_hi_u32 s29, s22, s27
	s_mul_i32 s28, s22, s27
	s_mul_hi_u32 s2, s22, s26
	s_mul_i32 s30, s23, s26
	s_wait_alu 0xfffe
	s_add_nc_u64 s[28:29], s[2:3], s[28:29]
	s_mul_hi_u32 s21, s23, s26
	s_mul_hi_u32 s31, s23, s27
	s_add_co_u32 s2, s28, s30
	s_wait_alu 0xfffe
	s_add_co_ci_u32 s2, s29, s21
	s_mul_i32 s26, s23, s27
	s_add_co_ci_u32 s27, s31, 0
	s_wait_alu 0xfffe
	s_add_nc_u64 s[26:27], s[2:3], s[26:27]
	s_wait_alu 0xfffe
	v_add_co_u32 v4, s2, s22, s26
	s_delay_alu instid0(VALU_DEP_1) | instskip(SKIP_1) | instid1(VALU_DEP_1)
	s_cmp_lg_u32 s2, 0
	s_add_co_ci_u32 s23, s23, s27
	v_readfirstlane_b32 s22, v4
	s_wait_alu 0xfffe
	s_delay_alu instid0(VALU_DEP_1)
	s_mul_u64 s[24:25], s[24:25], s[22:23]
	s_wait_alu 0xfffe
	s_mul_hi_u32 s27, s22, s25
	s_mul_i32 s26, s22, s25
	s_mul_hi_u32 s2, s22, s24
	s_mul_i32 s28, s23, s24
	s_wait_alu 0xfffe
	s_add_nc_u64 s[26:27], s[2:3], s[26:27]
	s_mul_hi_u32 s21, s23, s24
	s_mul_hi_u32 s22, s23, s25
	s_wait_alu 0xfffe
	s_add_co_u32 s2, s26, s28
	s_add_co_ci_u32 s2, s27, s21
	s_mul_i32 s24, s23, s25
	s_add_co_ci_u32 s25, s22, 0
	s_wait_alu 0xfffe
	s_add_nc_u64 s[24:25], s[2:3], s[24:25]
	s_wait_alu 0xfffe
	v_add_co_u32 v4, s2, v4, s24
	s_delay_alu instid0(VALU_DEP_1) | instskip(SKIP_1) | instid1(VALU_DEP_1)
	s_cmp_lg_u32 s2, 0
	s_add_co_ci_u32 s2, s23, s25
	v_mul_hi_u32 v13, v5, v4
	s_wait_alu 0xfffe
	v_mad_co_u64_u32 v[7:8], null, v5, s2, 0
	v_mad_co_u64_u32 v[9:10], null, v6, v4, 0
	;; [unrolled: 1-line block ×3, first 2 shown]
	s_delay_alu instid0(VALU_DEP_3) | instskip(SKIP_1) | instid1(VALU_DEP_4)
	v_add_co_u32 v4, vcc_lo, v13, v7
	s_wait_alu 0xfffd
	v_add_co_ci_u32_e32 v7, vcc_lo, 0, v8, vcc_lo
	s_delay_alu instid0(VALU_DEP_2) | instskip(SKIP_1) | instid1(VALU_DEP_2)
	v_add_co_u32 v4, vcc_lo, v4, v9
	s_wait_alu 0xfffd
	v_add_co_ci_u32_e32 v4, vcc_lo, v7, v10, vcc_lo
	s_wait_alu 0xfffd
	v_add_co_ci_u32_e32 v7, vcc_lo, 0, v12, vcc_lo
	s_delay_alu instid0(VALU_DEP_2) | instskip(SKIP_1) | instid1(VALU_DEP_2)
	v_add_co_u32 v4, vcc_lo, v4, v11
	s_wait_alu 0xfffd
	v_add_co_ci_u32_e32 v9, vcc_lo, 0, v7, vcc_lo
	s_delay_alu instid0(VALU_DEP_2) | instskip(SKIP_1) | instid1(VALU_DEP_3)
	v_mul_lo_u32 v10, s19, v4
	v_mad_co_u64_u32 v[7:8], null, s18, v4, 0
	v_mul_lo_u32 v11, s18, v9
	s_delay_alu instid0(VALU_DEP_2) | instskip(NEXT) | instid1(VALU_DEP_2)
	v_sub_co_u32 v7, vcc_lo, v5, v7
	v_add3_u32 v8, v8, v11, v10
	s_delay_alu instid0(VALU_DEP_1) | instskip(SKIP_1) | instid1(VALU_DEP_1)
	v_sub_nc_u32_e32 v10, v6, v8
	s_wait_alu 0xfffd
	v_subrev_co_ci_u32_e64 v10, s2, s19, v10, vcc_lo
	v_add_co_u32 v11, s2, v4, 2
	s_wait_alu 0xf1ff
	v_add_co_ci_u32_e64 v12, s2, 0, v9, s2
	v_sub_co_u32 v13, s2, v7, s18
	v_sub_co_ci_u32_e32 v8, vcc_lo, v6, v8, vcc_lo
	s_wait_alu 0xf1ff
	v_subrev_co_ci_u32_e64 v10, s2, 0, v10, s2
	s_delay_alu instid0(VALU_DEP_3) | instskip(NEXT) | instid1(VALU_DEP_3)
	v_cmp_le_u32_e32 vcc_lo, s18, v13
	v_cmp_eq_u32_e64 s2, s19, v8
	s_wait_alu 0xfffd
	v_cndmask_b32_e64 v13, 0, -1, vcc_lo
	v_cmp_le_u32_e32 vcc_lo, s19, v10
	s_wait_alu 0xfffd
	v_cndmask_b32_e64 v14, 0, -1, vcc_lo
	v_cmp_le_u32_e32 vcc_lo, s18, v7
	;; [unrolled: 3-line block ×3, first 2 shown]
	s_wait_alu 0xfffd
	v_cndmask_b32_e64 v15, 0, -1, vcc_lo
	v_cmp_eq_u32_e32 vcc_lo, s19, v10
	s_wait_alu 0xf1ff
	s_delay_alu instid0(VALU_DEP_2)
	v_cndmask_b32_e64 v7, v15, v7, s2
	s_wait_alu 0xfffd
	v_cndmask_b32_e32 v10, v14, v13, vcc_lo
	v_add_co_u32 v13, vcc_lo, v4, 1
	s_wait_alu 0xfffd
	v_add_co_ci_u32_e32 v14, vcc_lo, 0, v9, vcc_lo
	s_delay_alu instid0(VALU_DEP_3) | instskip(SKIP_2) | instid1(VALU_DEP_3)
	v_cmp_ne_u32_e32 vcc_lo, 0, v10
	s_wait_alu 0xfffd
	v_cndmask_b32_e32 v10, v13, v11, vcc_lo
	v_cndmask_b32_e32 v8, v14, v12, vcc_lo
	v_cmp_ne_u32_e32 vcc_lo, 0, v7
	s_wait_alu 0xfffd
	s_delay_alu instid0(VALU_DEP_2)
	v_dual_cndmask_b32 v7, v4, v10 :: v_dual_cndmask_b32 v8, v9, v8
.LBB0_4:                                ;   in Loop: Header=BB0_2 Depth=1
	s_wait_alu 0xfffe
	s_and_not1_saveexec_b32 s2, s20
	s_cbranch_execz .LBB0_6
; %bb.5:                                ;   in Loop: Header=BB0_2 Depth=1
	v_cvt_f32_u32_e32 v4, s18
	s_sub_co_i32 s20, 0, s18
	s_delay_alu instid0(VALU_DEP_1) | instskip(NEXT) | instid1(TRANS32_DEP_1)
	v_rcp_iflag_f32_e32 v4, v4
	v_mul_f32_e32 v4, 0x4f7ffffe, v4
	s_delay_alu instid0(VALU_DEP_1) | instskip(SKIP_1) | instid1(VALU_DEP_1)
	v_cvt_u32_f32_e32 v4, v4
	s_wait_alu 0xfffe
	v_mul_lo_u32 v7, s20, v4
	s_delay_alu instid0(VALU_DEP_1) | instskip(NEXT) | instid1(VALU_DEP_1)
	v_mul_hi_u32 v7, v4, v7
	v_add_nc_u32_e32 v4, v4, v7
	s_delay_alu instid0(VALU_DEP_1) | instskip(NEXT) | instid1(VALU_DEP_1)
	v_mul_hi_u32 v4, v5, v4
	v_mul_lo_u32 v7, v4, s18
	v_add_nc_u32_e32 v8, 1, v4
	s_delay_alu instid0(VALU_DEP_2) | instskip(NEXT) | instid1(VALU_DEP_1)
	v_sub_nc_u32_e32 v7, v5, v7
	v_subrev_nc_u32_e32 v9, s18, v7
	v_cmp_le_u32_e32 vcc_lo, s18, v7
	s_wait_alu 0xfffd
	s_delay_alu instid0(VALU_DEP_2) | instskip(NEXT) | instid1(VALU_DEP_1)
	v_dual_cndmask_b32 v7, v7, v9 :: v_dual_cndmask_b32 v4, v4, v8
	v_cmp_le_u32_e32 vcc_lo, s18, v7
	s_delay_alu instid0(VALU_DEP_2) | instskip(SKIP_1) | instid1(VALU_DEP_1)
	v_add_nc_u32_e32 v8, 1, v4
	s_wait_alu 0xfffd
	v_dual_cndmask_b32 v7, v4, v8 :: v_dual_mov_b32 v8, v3
.LBB0_6:                                ;   in Loop: Header=BB0_2 Depth=1
	s_wait_alu 0xfffe
	s_or_b32 exec_lo, exec_lo, s2
	s_load_b64 s[20:21], s[12:13], 0x0
	s_delay_alu instid0(VALU_DEP_1)
	v_mul_lo_u32 v4, v8, s18
	v_mul_lo_u32 v11, v7, s19
	v_mad_co_u64_u32 v[9:10], null, v7, s18, 0
	s_add_nc_u64 s[14:15], s[14:15], 1
	s_add_nc_u64 s[12:13], s[12:13], 8
	s_wait_alu 0xfffe
	v_cmp_ge_u64_e64 s2, s[14:15], s[6:7]
	s_add_nc_u64 s[16:17], s[16:17], 8
	s_delay_alu instid0(VALU_DEP_2) | instskip(NEXT) | instid1(VALU_DEP_3)
	v_add3_u32 v4, v10, v11, v4
	v_sub_co_u32 v5, vcc_lo, v5, v9
	s_wait_alu 0xfffd
	s_delay_alu instid0(VALU_DEP_2) | instskip(SKIP_3) | instid1(VALU_DEP_2)
	v_sub_co_ci_u32_e32 v4, vcc_lo, v6, v4, vcc_lo
	s_and_b32 vcc_lo, exec_lo, s2
	s_wait_kmcnt 0x0
	v_mul_lo_u32 v6, s21, v5
	v_mul_lo_u32 v4, s20, v4
	v_mad_co_u64_u32 v[1:2], null, s20, v5, v[1:2]
	s_delay_alu instid0(VALU_DEP_1)
	v_add3_u32 v2, v6, v2, v4
	s_wait_alu 0xfffe
	s_cbranch_vccnz .LBB0_9
; %bb.7:                                ;   in Loop: Header=BB0_2 Depth=1
	v_dual_mov_b32 v5, v7 :: v_dual_mov_b32 v6, v8
	s_branch .LBB0_2
.LBB0_8:
	v_dual_mov_b32 v8, v6 :: v_dual_mov_b32 v7, v5
.LBB0_9:
	s_lshl_b64 s[2:3], s[6:7], 3
	v_mul_hi_u32 v3, 0x13b13b2, v0
	s_wait_alu 0xfffe
	s_add_nc_u64 s[2:3], s[10:11], s[2:3]
	v_mov_b32_e32 v87, 0
	s_load_b64 s[2:3], s[2:3], 0x0
	s_load_b64 s[0:1], s[0:1], 0x20
                                        ; implicit-def: $vgpr58_vgpr59
                                        ; implicit-def: $vgpr50_vgpr51
                                        ; implicit-def: $vgpr46_vgpr47
                                        ; implicit-def: $vgpr38_vgpr39
                                        ; implicit-def: $vgpr26_vgpr27
                                        ; implicit-def: $vgpr18_vgpr19
                                        ; implicit-def: $vgpr34_vgpr35
                                        ; implicit-def: $vgpr10_vgpr11
                                        ; implicit-def: $vgpr22_vgpr23
                                        ; implicit-def: $vgpr14_vgpr15
                                        ; implicit-def: $vgpr30_vgpr31
	s_wait_kmcnt 0x0
	v_mul_lo_u32 v4, s2, v8
	v_mul_lo_u32 v5, s3, v7
	v_mad_co_u64_u32 v[84:85], null, s2, v7, v[1:2]
	v_mul_u32_u24_e32 v1, 0xd0, v3
	v_cmp_gt_u64_e32 vcc_lo, s[0:1], v[7:8]
                                        ; implicit-def: $vgpr6_vgpr7
                                        ; implicit-def: $vgpr2_vgpr3
	s_delay_alu instid0(VALU_DEP_2) | instskip(NEXT) | instid1(VALU_DEP_4)
	v_sub_nc_u32_e32 v86, v0, v1
	v_add3_u32 v85, v5, v85, v4
	s_and_saveexec_b32 s1, vcc_lo
	s_cbranch_execz .LBB0_13
; %bb.10:
	s_mov_b32 s2, exec_lo
                                        ; implicit-def: $vgpr28_vgpr29
                                        ; implicit-def: $vgpr12_vgpr13
                                        ; implicit-def: $vgpr20_vgpr21
                                        ; implicit-def: $vgpr0_vgpr1
                                        ; implicit-def: $vgpr4_vgpr5
                                        ; implicit-def: $vgpr8_vgpr9
                                        ; implicit-def: $vgpr32_vgpr33
                                        ; implicit-def: $vgpr16_vgpr17
                                        ; implicit-def: $vgpr24_vgpr25
                                        ; implicit-def: $vgpr36_vgpr37
                                        ; implicit-def: $vgpr44_vgpr45
                                        ; implicit-def: $vgpr48_vgpr49
                                        ; implicit-def: $vgpr56_vgpr57
	v_cmpx_gt_u32_e32 0x50, v86
; %bb.11:
	v_mov_b32_e32 v87, 0
	v_lshlrev_b64_e32 v[0:1], 4, v[84:85]
	s_delay_alu instid0(VALU_DEP_2) | instskip(NEXT) | instid1(VALU_DEP_2)
	v_lshlrev_b64_e32 v[2:3], 4, v[86:87]
	v_add_co_u32 v0, s0, s8, v0
	s_wait_alu 0xf1ff
	s_delay_alu instid0(VALU_DEP_3) | instskip(NEXT) | instid1(VALU_DEP_2)
	v_add_co_ci_u32_e64 v1, s0, s9, v1, s0
	v_add_co_u32 v0, s0, v0, v2
	s_wait_alu 0xf1ff
	s_delay_alu instid0(VALU_DEP_2)
	v_add_co_ci_u32_e64 v1, s0, v1, v3, s0
	s_clause 0xc
	global_load_b128 v[28:31], v[0:1], off
	global_load_b128 v[56:59], v[0:1], off offset:1280
	global_load_b128 v[48:51], v[0:1], off offset:2560
	;; [unrolled: 1-line block ×12, first 2 shown]
; %bb.12:
	s_wait_alu 0xfffe
	s_or_b32 exec_lo, exec_lo, s2
	v_mov_b32_e32 v87, v86
.LBB0_13:
	s_wait_alu 0xfffe
	s_or_b32 exec_lo, exec_lo, s1
	s_wait_loadcnt 0xb
	v_add_f64_e32 v[40:41], v[56:57], v[28:29]
	s_wait_loadcnt 0x0
	v_add_f64_e32 v[42:43], v[56:57], v[0:1]
	s_mov_b32 s30, 0x1ea71119
	s_mov_b32 s28, 0xebaa3ed8
	;; [unrolled: 1-line block ×12, first 2 shown]
	v_add_f64_e64 v[52:53], v[58:59], -v[2:3]
	v_add_f64_e32 v[54:55], v[48:49], v[4:5]
	s_mov_b32 s2, 0x42a4c3d2
	s_mov_b32 s0, 0x66966769
	;; [unrolled: 1-line block ×19, first 2 shown]
	s_wait_alu 0xfffe
	s_mov_b32 s16, s18
	s_mov_b32 s26, s22
	;; [unrolled: 1-line block ×3, first 2 shown]
	v_add_f64_e32 v[40:41], v[48:49], v[40:41]
	v_mul_f64_e32 v[60:61], s[30:31], v[42:43]
	v_mul_f64_e32 v[62:63], s[28:29], v[42:43]
	;; [unrolled: 1-line block ×6, first 2 shown]
	s_mov_b32 s24, s2
	s_mov_b32 s20, s12
	v_add_f64_e64 v[70:71], v[50:51], -v[6:7]
	v_add_f64_e32 v[72:73], v[44:45], v[8:9]
	v_add_f64_e32 v[100:101], v[36:37], v[20:21]
	v_mul_f64_e32 v[74:75], s[34:35], v[54:55]
	v_mul_f64_e32 v[76:77], s[40:41], v[54:55]
	;; [unrolled: 1-line block ×6, first 2 shown]
	v_add_f64_e32 v[40:41], v[44:45], v[40:41]
	v_fma_f64 v[88:89], v[52:53], s[2:3], v[60:61]
	v_fma_f64 v[90:91], v[52:53], s[0:1], v[62:63]
	s_wait_alu 0xfffe
	v_fma_f64 v[60:61], v[52:53], s[24:25], v[60:61]
	v_fma_f64 v[62:63], v[52:53], s[14:15], v[62:63]
	;; [unrolled: 1-line block ×10, first 2 shown]
	v_add_f64_e64 v[52:53], v[46:47], -v[10:11]
	v_mul_f64_e32 v[102:103], s[40:41], v[72:73]
	v_mul_f64_e32 v[104:105], s[34:35], v[72:73]
	;; [unrolled: 1-line block ×6, first 2 shown]
	v_fma_f64 v[112:113], v[70:71], s[10:11], v[74:75]
	v_fma_f64 v[114:115], v[70:71], s[12:13], v[76:77]
	;; [unrolled: 1-line block ×12, first 2 shown]
	v_mul_f64_e32 v[124:125], s[36:37], v[100:101]
	v_mul_f64_e32 v[126:127], s[38:39], v[100:101]
	;; [unrolled: 1-line block ×6, first 2 shown]
	v_add_f64_e32 v[40:41], v[36:37], v[40:41]
	v_add_f64_e32 v[70:71], v[88:89], v[28:29]
	;; [unrolled: 1-line block ×13, first 2 shown]
	v_add_f64_e64 v[42:43], v[38:39], -v[22:23]
	v_add_f64_e32 v[98:99], v[24:25], v[32:33]
	v_fma_f64 v[134:135], v[52:53], s[12:13], v[102:103]
	v_fma_f64 v[136:137], v[52:53], s[6:7], v[104:105]
	;; [unrolled: 1-line block ×12, first 2 shown]
	v_add_f64_e32 v[40:41], v[24:25], v[40:41]
	v_add_f64_e32 v[70:71], v[112:113], v[70:71]
	;; [unrolled: 1-line block ×13, first 2 shown]
	v_add_f64_e64 v[54:55], v[26:27], -v[34:35]
	v_add_f64_e32 v[80:81], v[16:17], v[12:13]
	v_mul_f64_e32 v[82:83], s[28:29], v[98:99]
	v_mul_f64_e32 v[90:91], s[30:31], v[98:99]
	;; [unrolled: 1-line block ×6, first 2 shown]
	v_fma_f64 v[112:113], v[42:43], s[16:17], v[124:125]
	v_fma_f64 v[114:115], v[42:43], s[26:27], v[126:127]
	v_fma_f64 v[116:117], v[42:43], s[18:19], v[124:125]
	v_fma_f64 v[118:119], v[42:43], s[22:23], v[126:127]
	v_fma_f64 v[120:121], v[42:43], s[0:1], v[128:129]
	v_fma_f64 v[122:123], v[42:43], s[20:21], v[130:131]
	v_fma_f64 v[124:125], v[42:43], s[10:11], v[132:133]
	v_fma_f64 v[126:127], v[42:43], s[6:7], v[132:133]
	v_fma_f64 v[128:129], v[42:43], s[14:15], v[128:129]
	v_fma_f64 v[130:131], v[42:43], s[12:13], v[130:131]
	v_fma_f64 v[132:133], v[42:43], s[24:25], v[100:101]
	v_fma_f64 v[42:43], v[42:43], s[2:3], v[100:101]
	v_add_f64_e32 v[40:41], v[12:13], v[40:41]
	v_add_f64_e32 v[70:71], v[134:135], v[70:71]
	;; [unrolled: 1-line block ×13, first 2 shown]
	v_add_f64_e64 v[52:53], v[14:15], -v[18:19]
	v_mul_f64_e32 v[100:101], s[38:39], v[80:81]
	v_mul_f64_e32 v[102:103], s[36:37], v[80:81]
	;; [unrolled: 1-line block ×6, first 2 shown]
	v_fma_f64 v[110:111], v[54:55], s[14:15], v[82:83]
	v_fma_f64 v[134:135], v[54:55], s[2:3], v[90:91]
	;; [unrolled: 1-line block ×12, first 2 shown]
	v_add_f64_e32 v[40:41], v[16:17], v[40:41]
	v_add_f64_e32 v[70:71], v[112:113], v[70:71]
	;; [unrolled: 1-line block ×13, first 2 shown]
	v_fma_f64 v[42:43], v[52:53], s[26:27], v[100:101]
	v_fma_f64 v[98:99], v[52:53], s[18:19], v[102:103]
	;; [unrolled: 1-line block ×12, first 2 shown]
	v_cmp_gt_u32_e64 s1, 0x50, v86
	v_add_f64_e32 v[40:41], v[32:33], v[40:41]
	v_add_f64_e32 v[52:53], v[110:111], v[70:71]
	;; [unrolled: 1-line block ×23, first 2 shown]
	v_mad_u32_u24 v89, 0x68, v86, 0
	v_add_f64_e32 v[76:77], v[118:119], v[78:79]
	v_add_f64_e32 v[78:79], v[80:81], v[28:29]
	;; [unrolled: 1-line block ×3, first 2 shown]
	s_delay_alu instid0(VALU_DEP_1) | instskip(SKIP_1) | instid1(VALU_DEP_2)
	v_add_f64_e32 v[94:95], v[4:5], v[40:41]
	v_add_f64_e32 v[40:41], v[106:107], v[66:67]
	;; [unrolled: 1-line block ×3, first 2 shown]
	s_and_saveexec_b32 s0, s1
	s_cbranch_execz .LBB0_15
; %bb.14:
	ds_store_2addr_b64 v89, v[52:53], v[54:55] offset1:1
	ds_store_2addr_b64 v89, v[68:69], v[70:71] offset0:2 offset1:3
	ds_store_2addr_b64 v89, v[60:61], v[62:63] offset0:4 offset1:5
	;; [unrolled: 1-line block ×5, first 2 shown]
	ds_store_b64 v89, v[64:65] offset:96
.LBB0_15:
	s_wait_alu 0xfffe
	s_or_b32 exec_lo, exec_lo, s0
	v_cmp_gt_u32_e64 s0, 0x41, v86
	v_lshl_add_u32 v88, v86, 3, 0
	global_wb scope:SCOPE_SE
	s_wait_dscnt 0x0
	s_barrier_signal -1
	s_barrier_wait -1
	global_inv scope:SCOPE_SE
                                        ; implicit-def: $vgpr80_vgpr81
	s_and_saveexec_b32 s2, s0
	s_cbranch_execz .LBB0_17
; %bb.16:
	v_add_nc_u32_e32 v28, 0x800, v88
	v_add_nc_u32_e32 v29, 0x1000, v88
	v_add_nc_u32_e32 v80, 0x1800, v88
	ds_load_2addr_b64 v[52:55], v88 offset1:65
	ds_load_2addr_b64 v[68:71], v88 offset0:130 offset1:195
	ds_load_2addr_b64 v[60:63], v28 offset0:4 offset1:69
	;; [unrolled: 1-line block ×7, first 2 shown]
.LBB0_17:
	s_wait_alu 0xfffe
	s_or_b32 exec_lo, exec_lo, s2
	v_add_f64_e32 v[28:29], v[58:59], v[30:31]
	v_add_f64_e64 v[0:1], v[56:57], -v[0:1]
	s_mov_b32 s26, 0x42a4c3d2
	s_mov_b32 s30, 0x66966769
	;; [unrolled: 1-line block ×12, first 2 shown]
	v_add_f64_e64 v[4:5], v[48:49], -v[4:5]
	v_add_f64_e32 v[48:49], v[58:59], v[2:3]
	s_mov_b32 s2, 0xe00740e9
	s_mov_b32 s10, 0x1ea71119
	;; [unrolled: 1-line block ×13, first 2 shown]
	s_wait_alu 0xfffe
	s_mov_b32 s34, s16
	s_mov_b32 s28, s30
	;; [unrolled: 1-line block ×3, first 2 shown]
	v_add_f64_e64 v[8:9], v[44:45], -v[8:9]
	v_add_f64_e32 v[44:45], v[50:51], v[6:7]
	s_mov_b32 s37, 0x3fedeba7
	s_mov_b32 s36, s14
	v_add_f64_e64 v[20:21], v[36:37], -v[20:21]
	s_mov_b32 s39, 0x3fcea1e5
	v_add_f64_e32 v[28:29], v[50:51], v[28:29]
	v_mul_f64_e32 v[56:57], s[12:13], v[0:1]
	v_mul_f64_e32 v[58:59], s[26:27], v[0:1]
	;; [unrolled: 1-line block ×6, first 2 shown]
	s_mov_b32 s13, 0x3fddbe06
	s_mov_b32 s38, s22
	v_add_f64_e64 v[24:25], v[24:25], -v[32:33]
	v_add_f64_e64 v[12:13], v[12:13], -v[16:17]
	global_wb scope:SCOPE_SE
	s_wait_dscnt 0x0
	s_barrier_signal -1
	s_barrier_wait -1
	v_mul_f64_e32 v[50:51], s[26:27], v[4:5]
	v_mul_f64_e32 v[96:97], s[14:15], v[4:5]
	;; [unrolled: 1-line block ×3, first 2 shown]
	s_wait_alu 0xfffe
	v_mul_f64_e32 v[100:101], s[34:35], v[4:5]
	v_mul_f64_e32 v[102:103], s[28:29], v[4:5]
	;; [unrolled: 1-line block ×3, first 2 shown]
	global_inv scope:SCOPE_SE
	v_mul_f64_e32 v[36:37], s[30:31], v[8:9]
	v_mul_f64_e32 v[116:117], s[36:37], v[8:9]
	;; [unrolled: 1-line block ×4, first 2 shown]
	s_mov_b32 s37, 0x3fea55e2
	s_mov_b32 s36, s26
	v_add_f64_e32 v[28:29], v[46:47], v[28:29]
	v_fma_f64 v[104:105], v[48:49], s[2:3], v[56:57]
	v_fma_f64 v[56:57], v[48:49], s[2:3], -v[56:57]
	v_fma_f64 v[106:107], v[48:49], s[10:11], v[58:59]
	v_fma_f64 v[58:59], v[48:49], s[10:11], -v[58:59]
	;; [unrolled: 2-line block ×6, first 2 shown]
	v_add_f64_e32 v[46:47], v[46:47], v[10:11]
	v_mul_f64_e32 v[48:49], s[22:23], v[8:9]
	v_mul_f64_e32 v[8:9], s[12:13], v[8:9]
	v_fma_f64 v[122:123], v[44:45], s[10:11], v[50:51]
	v_fma_f64 v[50:51], v[44:45], s[10:11], -v[50:51]
	v_fma_f64 v[124:125], v[44:45], s[18:19], v[96:97]
	v_fma_f64 v[96:97], v[44:45], s[18:19], -v[96:97]
	;; [unrolled: 2-line block ×6, first 2 shown]
	v_mul_f64_e32 v[32:33], s[14:15], v[20:21]
	v_mul_f64_e32 v[134:135], s[38:39], v[20:21]
	s_wait_alu 0xfffe
	v_mul_f64_e32 v[136:137], s[36:37], v[20:21]
	v_mul_f64_e32 v[16:17], s[16:17], v[24:25]
	v_add_f64_e32 v[28:29], v[38:39], v[28:29]
	v_add_f64_e32 v[44:45], v[104:105], v[30:31]
	;; [unrolled: 1-line block ×14, first 2 shown]
	v_mul_f64_e32 v[38:39], s[34:35], v[20:21]
	v_mul_f64_e32 v[114:115], s[30:31], v[20:21]
	;; [unrolled: 1-line block ×3, first 2 shown]
	v_fma_f64 v[138:139], v[46:47], s[6:7], v[36:37]
	v_fma_f64 v[36:37], v[46:47], s[6:7], -v[36:37]
	v_fma_f64 v[140:141], v[46:47], s[24:25], v[48:49]
	v_fma_f64 v[48:49], v[46:47], s[24:25], -v[48:49]
	;; [unrolled: 2-line block ×6, first 2 shown]
	v_add_f64_e32 v[28:29], v[26:27], v[28:29]
	v_add_f64_e32 v[44:45], v[122:123], v[44:45]
	;; [unrolled: 1-line block ×14, first 2 shown]
	v_mul_f64_e32 v[26:27], s[28:29], v[24:25]
	v_mul_f64_e32 v[102:103], s[38:39], v[24:25]
	;; [unrolled: 1-line block ×3, first 2 shown]
	v_fma_f64 v[106:107], v[30:31], s[18:19], v[32:33]
	v_fma_f64 v[32:33], v[30:31], s[18:19], -v[32:33]
	v_fma_f64 v[108:109], v[30:31], s[20:21], v[38:39]
	v_fma_f64 v[38:39], v[30:31], s[20:21], -v[38:39]
	;; [unrolled: 2-line block ×6, first 2 shown]
	v_add_f64_e32 v[28:29], v[14:15], v[28:29]
	v_add_f64_e32 v[30:31], v[138:139], v[44:45]
	;; [unrolled: 1-line block ×14, first 2 shown]
	v_mul_f64_e32 v[94:95], s[36:37], v[12:13]
	v_mul_f64_e32 v[96:97], s[14:15], v[12:13]
	;; [unrolled: 1-line block ×3, first 2 shown]
	v_fma_f64 v[100:101], v[4:5], s[20:21], v[16:17]
	v_fma_f64 v[16:17], v[4:5], s[20:21], -v[16:17]
	v_fma_f64 v[116:117], v[4:5], s[6:7], v[26:27]
	v_fma_f64 v[26:27], v[4:5], s[6:7], -v[26:27]
	v_fma_f64 v[120:121], v[4:5], s[24:25], v[102:103]
	v_fma_f64 v[102:103], v[4:5], s[24:25], -v[102:103]
	v_fma_f64 v[130:131], v[4:5], s[18:19], v[104:105]
	v_fma_f64 v[104:105], v[4:5], s[18:19], -v[104:105]
	v_add_f64_e32 v[28:29], v[18:19], v[28:29]
	v_mul_f64_e32 v[18:19], s[22:23], v[12:13]
	v_add_f64_e32 v[20:21], v[20:21], v[50:51]
	v_add_f64_e32 v[8:9], v[112:113], v[8:9]
	;; [unrolled: 1-line block ×4, first 2 shown]
	v_fma_f64 v[92:93], v[14:15], s[18:19], v[96:97]
	v_add_f64_e32 v[28:29], v[34:35], v[28:29]
	v_mul_f64_e32 v[34:35], s[26:27], v[24:25]
	v_mul_f64_e32 v[24:25], s[12:13], v[24:25]
	v_add_f64_e32 v[8:9], v[102:103], v[8:9]
	v_add_f64_e32 v[0:1], v[104:105], v[0:1]
	;; [unrolled: 1-line block ×3, first 2 shown]
	v_mul_f64_e32 v[28:29], s[16:17], v[12:13]
	v_mul_f64_e32 v[12:13], s[12:13], v[12:13]
	v_fma_f64 v[118:119], v[4:5], s[10:11], v[34:35]
	v_fma_f64 v[34:35], v[4:5], s[10:11], -v[34:35]
	v_fma_f64 v[132:133], v[4:5], s[2:3], v[24:25]
	v_fma_f64 v[4:5], v[4:5], s[2:3], -v[24:25]
	v_add_f64_e32 v[24:25], v[106:107], v[30:31]
	v_add_f64_e32 v[30:31], v[32:33], v[36:37]
	;; [unrolled: 1-line block ×8, first 2 shown]
	v_fma_f64 v[58:59], v[14:15], s[10:11], v[94:95]
	v_fma_f64 v[90:91], v[14:15], s[10:11], -v[94:95]
	v_fma_f64 v[94:95], v[14:15], s[18:19], -v[96:97]
	v_fma_f64 v[96:97], v[14:15], s[6:7], v[98:99]
	v_fma_f64 v[98:99], v[14:15], s[6:7], -v[98:99]
	v_add_f64_e32 v[10:11], v[10:11], v[22:23]
	v_fma_f64 v[22:23], v[14:15], s[24:25], v[18:19]
	v_fma_f64 v[18:19], v[14:15], s[24:25], -v[18:19]
	v_fma_f64 v[56:57], v[14:15], s[20:21], v[28:29]
	v_fma_f64 v[28:29], v[14:15], s[20:21], -v[28:29]
	;; [unrolled: 2-line block ×3, first 2 shown]
	v_add_f64_e32 v[14:15], v[100:101], v[24:25]
	v_add_f64_e32 v[16:17], v[16:17], v[30:31]
	;; [unrolled: 1-line block ×24, first 2 shown]
	s_and_saveexec_b32 s2, s1
	s_cbranch_execz .LBB0_19
; %bb.18:
	ds_store_2addr_b64 v89, v[2:3], v[4:5] offset1:1
	ds_store_2addr_b64 v89, v[18:19], v[20:21] offset0:2 offset1:3
	ds_store_2addr_b64 v89, v[14:15], v[16:17] offset0:4 offset1:5
	;; [unrolled: 1-line block ×5, first 2 shown]
	ds_store_b64 v89, v[10:11] offset:96
.LBB0_19:
	s_wait_alu 0xfffe
	s_or_b32 exec_lo, exec_lo, s2
	global_wb scope:SCOPE_SE
	s_wait_dscnt 0x0
	s_barrier_signal -1
	s_barrier_wait -1
	global_inv scope:SCOPE_SE
                                        ; implicit-def: $vgpr34_vgpr35
	s_and_saveexec_b32 s1, s0
	s_cbranch_execz .LBB0_21
; %bb.20:
	v_add_nc_u32_e32 v0, 0x800, v88
	v_add_nc_u32_e32 v1, 0x1000, v88
	;; [unrolled: 1-line block ×3, first 2 shown]
	ds_load_2addr_b64 v[2:5], v88 offset1:65
	ds_load_2addr_b64 v[18:21], v88 offset0:130 offset1:195
	ds_load_2addr_b64 v[14:17], v0 offset0:4 offset1:69
	;; [unrolled: 1-line block ×7, first 2 shown]
.LBB0_21:
	s_wait_alu 0xfffe
	s_or_b32 exec_lo, exec_lo, s1
	v_and_b32_e32 v0, 0xff, v86
	s_mov_b32 s2, 0x667f3bcd
	s_mov_b32 s3, 0x3fe6a09e
	;; [unrolled: 1-line block ×3, first 2 shown]
	s_wait_alu 0xfffe
	s_mov_b32 s6, s2
	v_mul_lo_u16 v0, 0x4f, v0
	s_delay_alu instid0(VALU_DEP_1) | instskip(NEXT) | instid1(VALU_DEP_1)
	v_lshrrev_b16 v146, 10, v0
	v_mul_lo_u16 v0, v146, 13
	s_delay_alu instid0(VALU_DEP_1) | instskip(NEXT) | instid1(VALU_DEP_1)
	v_sub_nc_u16 v0, v86, v0
	v_and_b32_e32 v89, 0xff, v0
	s_delay_alu instid0(VALU_DEP_1) | instskip(NEXT) | instid1(VALU_DEP_1)
	v_mul_u32_u24_e32 v0, 15, v89
	v_lshlrev_b32_e32 v0, 4, v0
	s_clause 0xe
	global_load_b128 v[44:47], v0, s[4:5]
	global_load_b128 v[48:51], v0, s[4:5] offset:32
	global_load_b128 v[56:59], v0, s[4:5] offset:64
	;; [unrolled: 1-line block ×14, first 2 shown]
	global_wb scope:SCOPE_SE
	s_wait_loadcnt_dscnt 0x0
	s_barrier_signal -1
	s_barrier_wait -1
	global_inv scope:SCOPE_SE
	v_mul_f64_e32 v[0:1], v[4:5], v[46:47]
	v_mul_f64_e32 v[38:39], v[54:55], v[46:47]
	;; [unrolled: 1-line block ×16, first 2 shown]
	v_fma_f64 v[0:1], v[54:55], v[44:45], -v[0:1]
	v_fma_f64 v[4:5], v[4:5], v[44:45], v[38:39]
	v_fma_f64 v[38:39], v[70:71], v[48:49], -v[46:47]
	v_fma_f64 v[20:21], v[20:21], v[48:49], v[50:51]
	;; [unrolled: 2-line block ×7, first 2 shown]
	v_fma_f64 v[36:37], v[36:37], v[106:107], v[144:145]
	v_fma_f64 v[54:55], v[82:83], v[106:107], -v[108:109]
	v_mul_f64_e32 v[56:57], v[18:19], v[112:113]
	v_mul_f64_e32 v[58:59], v[68:69], v[112:113]
	;; [unrolled: 1-line block ×8, first 2 shown]
	v_add_f64_e64 v[42:43], v[0:1], -v[42:43]
	v_add_f64_e64 v[8:9], v[4:5], -v[8:9]
	;; [unrolled: 1-line block ×8, first 2 shown]
	v_fma_f64 v[56:57], v[68:69], v[110:111], -v[56:57]
	v_fma_f64 v[18:19], v[18:19], v[110:111], v[58:59]
	v_fma_f64 v[58:59], v[76:77], v[114:115], -v[62:63]
	v_fma_f64 v[26:27], v[26:27], v[114:115], v[66:67]
	;; [unrolled: 2-line block ×4, first 2 shown]
	v_mul_f64_e32 v[78:79], v[64:65], v[132:133]
	v_fma_f64 v[0:1], v[0:1], 2.0, -v[42:43]
	v_fma_f64 v[4:5], v[4:5], 2.0, -v[8:9]
	;; [unrolled: 1-line block ×6, first 2 shown]
	v_add_f64_e64 v[72:73], v[42:43], -v[12:13]
	v_add_f64_e32 v[74:75], v[8:9], v[46:47]
	v_add_f64_e64 v[68:69], v[48:49], -v[36:37]
	v_add_f64_e32 v[70:71], v[24:25], v[54:55]
	v_fma_f64 v[12:13], v[28:29], 2.0, -v[36:37]
	v_fma_f64 v[28:29], v[50:51], 2.0, -v[54:55]
	v_add_f64_e64 v[36:37], v[56:57], -v[62:63]
	v_add_f64_e64 v[22:23], v[18:19], -v[22:23]
	;; [unrolled: 1-line block ×4, first 2 shown]
	v_mul_f64_e32 v[66:67], v[10:11], v[132:133]
	v_add_f64_e64 v[44:45], v[0:1], -v[44:45]
	v_add_f64_e64 v[54:55], v[4:5], -v[16:17]
	v_fma_f64 v[42:43], v[42:43], 2.0, -v[72:73]
	v_fma_f64 v[76:77], v[8:9], 2.0, -v[74:75]
	;; [unrolled: 1-line block ×4, first 2 shown]
	v_add_f64_e64 v[16:17], v[20:21], -v[12:13]
	v_add_f64_e64 v[28:29], v[38:39], -v[28:29]
	v_mul_f64_e32 v[8:9], v[14:15], v[128:129]
	v_mul_f64_e32 v[48:49], v[60:61], v[128:129]
	v_fma_f64 v[90:91], v[68:69], s[2:3], v[72:73]
	v_fma_f64 v[92:93], v[70:71], s[2:3], v[74:75]
	v_add_f64_e32 v[82:83], v[22:23], v[46:47]
	v_add_f64_e64 v[80:81], v[36:37], -v[34:35]
	v_fma_f64 v[26:27], v[26:27], 2.0, -v[34:35]
	s_wait_alu 0xfffe
	v_fma_f64 v[94:95], v[62:63], s[6:7], v[42:43]
	v_fma_f64 v[96:97], v[24:25], s[6:7], v[76:77]
	v_add_f64_e64 v[98:99], v[44:45], -v[16:17]
	v_add_f64_e32 v[100:101], v[54:55], v[28:29]
	v_fma_f64 v[12:13], v[60:61], v[126:127], -v[8:9]
	v_fma_f64 v[50:51], v[14:15], v[126:127], v[48:49]
	v_fma_f64 v[14:15], v[64:65], v[130:131], -v[66:67]
	v_fma_f64 v[60:61], v[10:11], v[130:131], v[78:79]
	v_fma_f64 v[10:11], v[56:57], 2.0, -v[36:37]
	v_fma_f64 v[48:49], v[18:19], 2.0, -v[22:23]
	v_fma_f64 v[56:57], v[58:59], 2.0, -v[46:47]
	v_fma_f64 v[34:35], v[36:37], 2.0, -v[80:81]
	v_fma_f64 v[22:23], v[22:23], 2.0, -v[82:83]
	v_fma_f64 v[8:9], v[0:1], 2.0, -v[44:45]
	v_fma_f64 v[46:47], v[4:5], 2.0, -v[54:55]
	v_fma_f64 v[28:29], v[38:39], 2.0, -v[28:29]
	v_fma_f64 v[20:21], v[20:21], 2.0, -v[16:17]
	v_fma_f64 v[0:1], v[70:71], s[6:7], v[90:91]
	v_fma_f64 v[16:17], v[68:69], s[2:3], v[92:93]
	v_mul_f64_e32 v[58:59], s[2:3], v[80:81]
	v_mul_f64_e32 v[64:65], s[2:3], v[82:83]
	v_fma_f64 v[4:5], v[24:25], s[6:7], v[94:95]
	v_fma_f64 v[18:19], v[62:63], s[2:3], v[96:97]
	v_fma_f64 v[38:39], v[44:45], 2.0, -v[98:99]
	v_fma_f64 v[44:45], v[54:55], 2.0, -v[100:101]
	v_add_f64_e64 v[68:69], v[12:13], -v[14:15]
	v_add_f64_e64 v[70:71], v[50:51], -v[60:61]
	;; [unrolled: 1-line block ×4, first 2 shown]
	v_mul_f64_e32 v[60:61], s[2:3], v[34:35]
	v_mul_f64_e32 v[66:67], s[2:3], v[22:23]
	;; [unrolled: 1-line block ×3, first 2 shown]
	v_add_f64_e64 v[22:23], v[8:9], -v[28:29]
	v_add_f64_e64 v[56:57], v[46:47], -v[20:21]
	v_fma_f64 v[20:21], v[72:73], 2.0, -v[0:1]
	v_fma_f64 v[34:35], v[74:75], 2.0, -v[16:17]
	v_and_b32_e32 v72, 0xffff, v146
	v_fma_f64 v[24:25], v[42:43], 2.0, -v[4:5]
	v_fma_f64 v[36:37], v[76:77], 2.0, -v[18:19]
	v_mul_f64_e32 v[28:29], s[2:3], v[38:39]
	v_mul_f64_e32 v[38:39], s[2:3], v[44:45]
	;; [unrolled: 1-line block ×3, first 2 shown]
	s_and_saveexec_b32 s1, s0
	s_cbranch_execz .LBB0_23
; %bb.22:
	v_mul_f64_e32 v[14:15], v[6:7], v[32:33]
	v_fma_f64 v[12:13], v[12:13], 2.0, -v[68:69]
	v_fma_f64 v[10:11], v[10:11], 2.0, -v[54:55]
	s_mov_b32 s3, 0x3fed906b
	s_mov_b32 s2, 0xcf328d46
	;; [unrolled: 1-line block ×5, first 2 shown]
	s_wait_alu 0xfffe
	s_mov_b32 s10, s6
	v_fma_f64 v[8:9], v[8:9], 2.0, -v[22:23]
	v_mul_u32_u24_e32 v83, 0xd0, v72
	s_delay_alu instid0(VALU_DEP_1) | instskip(NEXT) | instid1(VALU_DEP_1)
	v_or_b32_e32 v83, v83, v89
	v_lshl_add_u32 v83, v83, 3, 0
	v_fma_f64 v[14:15], v[40:41], v[30:31], -v[14:15]
	s_delay_alu instid0(VALU_DEP_1) | instskip(NEXT) | instid1(VALU_DEP_1)
	v_add_f64_e64 v[14:15], v[52:53], -v[14:15]
	v_add_f64_e64 v[42:43], v[14:15], -v[70:71]
	v_fma_f64 v[52:53], v[52:53], 2.0, -v[14:15]
	s_delay_alu instid0(VALU_DEP_2) | instskip(SKIP_1) | instid1(VALU_DEP_3)
	v_fma_f64 v[14:15], v[14:15], 2.0, -v[42:43]
	v_add_f64_e32 v[73:74], v[42:43], v[58:59]
	v_add_f64_e64 v[12:13], v[52:53], -v[12:13]
	s_delay_alu instid0(VALU_DEP_3) | instskip(NEXT) | instid1(VALU_DEP_3)
	v_add_f64_e64 v[75:76], v[14:15], -v[60:61]
	v_add_f64_e64 v[73:74], v[73:74], -v[64:65]
	s_delay_alu instid0(VALU_DEP_3) | instskip(SKIP_1) | instid1(VALU_DEP_4)
	v_add_f64_e64 v[77:78], v[12:13], -v[62:63]
	v_fma_f64 v[52:53], v[52:53], 2.0, -v[12:13]
	v_add_f64_e64 v[75:76], v[75:76], -v[66:67]
	s_delay_alu instid0(VALU_DEP_4) | instskip(NEXT) | instid1(VALU_DEP_4)
	v_fma_f64 v[42:43], v[42:43], 2.0, -v[73:74]
	v_fma_f64 v[12:13], v[12:13], 2.0, -v[77:78]
	s_delay_alu instid0(VALU_DEP_4)
	v_add_f64_e64 v[10:11], v[52:53], -v[10:11]
	v_fma_f64 v[79:80], v[0:1], s[2:3], v[73:74]
	v_add_f64_e32 v[81:82], v[77:78], v[26:27]
	s_mov_b32 s3, 0xbfed906b
	v_fma_f64 v[14:15], v[14:15], 2.0, -v[75:76]
	v_fma_f64 v[90:91], v[20:21], s[6:7], v[42:43]
	v_add_f64_e64 v[92:93], v[12:13], -v[28:29]
	s_wait_alu 0xfffe
	v_fma_f64 v[94:95], v[4:5], s[10:11], v[75:76]
	v_fma_f64 v[52:53], v[52:53], 2.0, -v[10:11]
	v_fma_f64 v[79:80], v[16:17], s[6:7], v[79:80]
	v_add_f64_e64 v[81:82], v[81:82], -v[44:45]
	v_add_f64_e64 v[98:99], v[10:11], -v[56:57]
	v_fma_f64 v[96:97], v[24:25], s[2:3], v[14:15]
	v_fma_f64 v[90:91], v[34:35], s[2:3], v[90:91]
	v_add_f64_e64 v[92:93], v[92:93], -v[38:39]
	v_fma_f64 v[94:95], v[18:19], s[2:3], v[94:95]
	v_add_f64_e64 v[8:9], v[52:53], -v[8:9]
	v_fma_f64 v[73:74], v[73:74], 2.0, -v[79:80]
	v_fma_f64 v[77:78], v[77:78], 2.0, -v[81:82]
	;; [unrolled: 1-line block ×3, first 2 shown]
	v_fma_f64 v[96:97], v[36:37], s[6:7], v[96:97]
	v_fma_f64 v[42:43], v[42:43], 2.0, -v[90:91]
	v_fma_f64 v[12:13], v[12:13], 2.0, -v[92:93]
	;; [unrolled: 1-line block ×5, first 2 shown]
	ds_store_2addr_b64 v83, v[77:78], v[73:74] offset0:78 offset1:91
	ds_store_2addr_b64 v83, v[92:93], v[90:91] offset0:130 offset1:143
	;; [unrolled: 1-line block ×6, first 2 shown]
	ds_store_2addr_b64 v83, v[52:53], v[14:15] offset1:13
	ds_store_2addr_b64 v83, v[81:82], v[79:80] offset0:182 offset1:195
.LBB0_23:
	s_wait_alu 0xfffe
	s_or_b32 exec_lo, exec_lo, s1
	v_add_nc_u32_e32 v12, 0xc00, v88
	global_wb scope:SCOPE_SE
	s_wait_dscnt 0x0
	s_barrier_signal -1
	s_barrier_wait -1
	global_inv scope:SCOPE_SE
	ds_load_2addr_b64 v[8:11], v88 offset1:208
	ds_load_2addr_b64 v[12:15], v12 offset0:32 offset1:240
	ds_load_b64 v[42:43], v88 offset:6656
	global_wb scope:SCOPE_SE
	s_wait_dscnt 0x0
	s_barrier_signal -1
	s_barrier_wait -1
	global_inv scope:SCOPE_SE
	s_and_saveexec_b32 s1, s0
	s_cbranch_execz .LBB0_25
; %bb.24:
	v_mul_f64_e32 v[32:33], v[40:41], v[32:33]
	v_fma_f64 v[48:49], v[48:49], 2.0, -v[62:63]
	s_mov_b32 s6, 0xa6aea964
	s_mov_b32 s7, 0x3fd87de2
	;; [unrolled: 1-line block ×3, first 2 shown]
	s_wait_alu 0xfffe
	s_mov_b32 s10, s6
	s_mov_b32 s3, 0xbfed906b
	s_mov_b32 s2, 0xcf328d46
	v_fma_f64 v[46:47], v[46:47], 2.0, -v[56:57]
	s_delay_alu instid0(VALU_DEP_3) | instskip(SKIP_1) | instid1(VALU_DEP_2)
	v_fma_f64 v[6:7], v[6:7], v[30:31], v[32:33]
	v_fma_f64 v[32:33], v[50:51], 2.0, -v[70:71]
	v_add_f64_e64 v[6:7], v[2:3], -v[6:7]
	s_delay_alu instid0(VALU_DEP_1) | instskip(SKIP_1) | instid1(VALU_DEP_2)
	v_add_f64_e32 v[30:31], v[6:7], v[68:69]
	v_fma_f64 v[2:3], v[2:3], 2.0, -v[6:7]
	v_fma_f64 v[6:7], v[6:7], 2.0, -v[30:31]
	s_delay_alu instid0(VALU_DEP_2) | instskip(SKIP_1) | instid1(VALU_DEP_3)
	v_add_f64_e64 v[32:33], v[2:3], -v[32:33]
	v_add_f64_e32 v[40:41], v[30:31], v[64:65]
	v_add_f64_e64 v[50:51], v[6:7], -v[66:67]
	s_delay_alu instid0(VALU_DEP_3) | instskip(NEXT) | instid1(VALU_DEP_3)
	v_add_f64_e32 v[52:53], v[32:33], v[54:55]
	v_add_f64_e32 v[40:41], v[58:59], v[40:41]
	v_fma_f64 v[2:3], v[2:3], 2.0, -v[32:33]
	s_delay_alu instid0(VALU_DEP_4) | instskip(NEXT) | instid1(VALU_DEP_4)
	v_add_f64_e32 v[50:51], v[60:61], v[50:51]
	v_fma_f64 v[32:33], v[32:33], 2.0, -v[52:53]
	s_delay_alu instid0(VALU_DEP_4) | instskip(NEXT) | instid1(VALU_DEP_4)
	v_fma_f64 v[30:31], v[30:31], 2.0, -v[40:41]
	v_add_f64_e64 v[48:49], v[2:3], -v[48:49]
	v_add_f64_e32 v[44:45], v[52:53], v[44:45]
	v_fma_f64 v[6:7], v[6:7], 2.0, -v[50:51]
	v_add_f64_e64 v[38:39], v[32:33], -v[38:39]
	s_wait_alu 0xfffe
	v_fma_f64 v[34:35], v[34:35], s[10:11], v[30:31]
	v_fma_f64 v[18:19], v[18:19], s[6:7], v[50:51]
	v_fma_f64 v[2:3], v[2:3], 2.0, -v[48:49]
	v_add_f64_e32 v[22:23], v[48:49], v[22:23]
	v_add_f64_e32 v[26:27], v[26:27], v[44:45]
	v_fma_f64 v[36:37], v[36:37], s[2:3], v[6:7]
	s_mov_b32 s3, 0x3fed906b
	v_add_f64_e32 v[28:29], v[28:29], v[38:39]
	s_wait_alu 0xfffe
	v_fma_f64 v[16:17], v[16:17], s[2:3], v[40:41]
	v_fma_f64 v[20:21], v[20:21], s[2:3], v[34:35]
	;; [unrolled: 1-line block ×3, first 2 shown]
	v_add_f64_e64 v[44:45], v[2:3], -v[46:47]
	v_mul_u32_u24_e32 v38, 0xd0, v72
	s_delay_alu instid0(VALU_DEP_1) | instskip(NEXT) | instid1(VALU_DEP_1)
	v_or_b32_e32 v38, v38, v89
	v_lshl_add_u32 v38, v38, 3, 0
	v_fma_f64 v[18:19], v[24:25], s[6:7], v[36:37]
	v_fma_f64 v[24:25], v[52:53], 2.0, -v[26:27]
	v_fma_f64 v[32:33], v[32:33], 2.0, -v[28:29]
	v_fma_f64 v[0:1], v[0:1], s[6:7], v[16:17]
	v_fma_f64 v[30:31], v[30:31], 2.0, -v[20:21]
	v_fma_f64 v[16:17], v[48:49], 2.0, -v[22:23]
	;; [unrolled: 1-line block ×6, first 2 shown]
	ds_store_2addr_b64 v38, v[28:29], v[20:21] offset0:130 offset1:143
	ds_store_2addr_b64 v38, v[22:23], v[4:5] offset0:156 offset1:169
	;; [unrolled: 1-line block ×5, first 2 shown]
	ds_store_2addr_b64 v38, v[2:3], v[6:7] offset1:13
	ds_store_2addr_b64 v38, v[24:25], v[36:37] offset0:78 offset1:91
	ds_store_2addr_b64 v38, v[26:27], v[0:1] offset0:182 offset1:195
.LBB0_25:
	s_wait_alu 0xfffe
	s_or_b32 exec_lo, exec_lo, s1
	global_wb scope:SCOPE_SE
	s_wait_dscnt 0x0
	s_barrier_signal -1
	s_barrier_wait -1
	global_inv scope:SCOPE_SE
	s_and_saveexec_b32 s0, vcc_lo
	s_cbranch_execz .LBB0_27
; %bb.26:
	v_dual_mov_b32 v32, 0 :: v_dual_lshlrev_b32 v31, 2, v86
	v_add_nc_u32_e32 v28, 0xc00, v88
	s_mov_b32 s0, 0x134454ff
	s_mov_b32 s1, 0xbfee6f0e
	;; [unrolled: 1-line block ×3, first 2 shown]
	v_lshlrev_b64_e32 v[0:1], 4, v[31:32]
	s_wait_alu 0xfffe
	s_mov_b32 s2, s0
	s_delay_alu instid0(VALU_DEP_1) | instskip(SKIP_1) | instid1(VALU_DEP_2)
	v_add_co_u32 v20, vcc_lo, s4, v0
	s_wait_alu 0xfffd
	v_add_co_ci_u32_e32 v21, vcc_lo, s5, v1, vcc_lo
	s_clause 0x3
	global_load_b128 v[0:3], v[20:21], off offset:3136
	global_load_b128 v[4:7], v[20:21], off offset:3120
	;; [unrolled: 1-line block ×4, first 2 shown]
	ds_load_2addr_b64 v[24:27], v88 offset1:208
	ds_load_2addr_b64 v[28:31], v28 offset0:32 offset1:240
	ds_load_b64 v[33:34], v88 offset:6656
	v_mov_b32_e32 v88, v32
	s_wait_loadcnt 0x3
	v_mul_f64_e32 v[35:36], v[12:13], v[2:3]
	s_wait_loadcnt 0x2
	v_mul_f64_e32 v[37:38], v[10:11], v[6:7]
	;; [unrolled: 2-line block ×4, first 2 shown]
	s_wait_dscnt 0x1
	v_mul_f64_e32 v[2:3], v[28:29], v[2:3]
	v_mul_f64_e32 v[22:23], v[30:31], v[22:23]
	;; [unrolled: 1-line block ×3, first 2 shown]
	s_wait_dscnt 0x0
	v_mul_f64_e32 v[18:19], v[33:34], v[18:19]
	v_fma_f64 v[28:29], v[28:29], v[0:1], v[35:36]
	v_fma_f64 v[26:27], v[26:27], v[4:5], v[37:38]
	v_fma_f64 v[33:34], v[33:34], v[16:17], v[39:40]
	v_fma_f64 v[30:31], v[30:31], v[20:21], v[44:45]
	v_fma_f64 v[0:1], v[12:13], v[0:1], -v[2:3]
	v_fma_f64 v[2:3], v[14:15], v[20:21], -v[22:23]
	;; [unrolled: 1-line block ×4, first 2 shown]
	v_add_f64_e32 v[22:23], v[26:27], v[24:25]
	v_add_f64_e32 v[10:11], v[26:27], v[33:34]
	;; [unrolled: 1-line block ×3, first 2 shown]
	v_add_f64_e64 v[37:38], v[28:29], -v[30:31]
	v_add_f64_e32 v[14:15], v[0:1], v[2:3]
	v_add_f64_e32 v[35:36], v[8:9], v[4:5]
	;; [unrolled: 1-line block ×3, first 2 shown]
	v_add_f64_e64 v[18:19], v[4:5], -v[6:7]
	v_add_f64_e64 v[20:21], v[0:1], -v[2:3]
	;; [unrolled: 1-line block ×8, first 2 shown]
	v_add_f64_e32 v[22:23], v[28:29], v[22:23]
	v_fma_f64 v[10:11], v[10:11], -0.5, v[24:25]
	v_fma_f64 v[12:13], v[12:13], -0.5, v[24:25]
	v_add_f64_e64 v[24:25], v[26:27], -v[33:34]
	v_fma_f64 v[14:15], v[14:15], -0.5, v[8:9]
	v_add_f64_e32 v[0:1], v[0:1], v[35:36]
	v_fma_f64 v[8:9], v[16:17], -0.5, v[8:9]
	v_add_f64_e64 v[16:17], v[28:29], -v[26:27]
	v_add_f64_e64 v[26:27], v[26:27], -v[28:29]
	v_fma_f64 v[28:29], v[20:21], s[0:1], v[10:11]
	s_wait_alu 0xfffe
	v_fma_f64 v[10:11], v[20:21], s[2:3], v[10:11]
	v_fma_f64 v[35:36], v[18:19], s[2:3], v[12:13]
	;; [unrolled: 1-line block ×7, first 2 shown]
	s_mov_b32 s0, 0x4755a5e
	s_mov_b32 s1, 0x3fe2cf23
	s_mov_b32 s3, 0xbfe2cf23
	s_wait_alu 0xfffe
	s_mov_b32 s2, s0
	v_add_f64_e32 v[26:27], v[26:27], v[41:42]
	v_add_f64_e32 v[41:42], v[4:5], v[47:48]
	;; [unrolled: 1-line block ×6, first 2 shown]
	v_fma_f64 v[22:23], v[18:19], s[0:1], v[28:29]
	s_wait_alu 0xfffe
	v_fma_f64 v[10:11], v[18:19], s[2:3], v[10:11]
	v_fma_f64 v[18:19], v[20:21], s[0:1], v[35:36]
	;; [unrolled: 1-line block ×7, first 2 shown]
	s_mov_b32 s0, 0x372fe950
	s_mov_b32 s1, 0x3fd3c6ef
	v_add_f64_e32 v[2:3], v[33:34], v[4:5]
	v_add_f64_e32 v[0:1], v[0:1], v[6:7]
	s_wait_alu 0xfffe
	v_fma_f64 v[6:7], v[16:17], s[0:1], v[22:23]
	v_fma_f64 v[10:11], v[16:17], s[0:1], v[10:11]
	;; [unrolled: 1-line block ×8, first 2 shown]
	v_lshlrev_b64_e32 v[20:21], 4, v[84:85]
	v_lshlrev_b64_e32 v[22:23], 4, v[87:88]
	s_delay_alu instid0(VALU_DEP_2) | instskip(SKIP_1) | instid1(VALU_DEP_3)
	v_add_co_u32 v20, vcc_lo, s8, v20
	s_wait_alu 0xfffd
	v_add_co_ci_u32_e32 v21, vcc_lo, s9, v21, vcc_lo
	s_delay_alu instid0(VALU_DEP_2) | instskip(SKIP_1) | instid1(VALU_DEP_2)
	v_add_co_u32 v20, vcc_lo, v20, v22
	s_wait_alu 0xfffd
	v_add_co_ci_u32_e32 v21, vcc_lo, v21, v23, vcc_lo
	s_clause 0x4
	global_store_b128 v[20:21], v[0:3], off
	global_store_b128 v[20:21], v[16:19], off offset:3328
	global_store_b128 v[20:21], v[8:11], off offset:6656
	;; [unrolled: 1-line block ×4, first 2 shown]
.LBB0_27:
	s_nop 0
	s_sendmsg sendmsg(MSG_DEALLOC_VGPRS)
	s_endpgm
	.section	.rodata,"a",@progbits
	.p2align	6, 0x0
	.amdhsa_kernel fft_rtc_fwd_len1040_factors_13_16_5_wgs_208_tpt_208_halfLds_dp_ip_CI_unitstride_sbrr_dirReg
		.amdhsa_group_segment_fixed_size 0
		.amdhsa_private_segment_fixed_size 0
		.amdhsa_kernarg_size 88
		.amdhsa_user_sgpr_count 2
		.amdhsa_user_sgpr_dispatch_ptr 0
		.amdhsa_user_sgpr_queue_ptr 0
		.amdhsa_user_sgpr_kernarg_segment_ptr 1
		.amdhsa_user_sgpr_dispatch_id 0
		.amdhsa_user_sgpr_private_segment_size 0
		.amdhsa_wavefront_size32 1
		.amdhsa_uses_dynamic_stack 0
		.amdhsa_enable_private_segment 0
		.amdhsa_system_sgpr_workgroup_id_x 1
		.amdhsa_system_sgpr_workgroup_id_y 0
		.amdhsa_system_sgpr_workgroup_id_z 0
		.amdhsa_system_sgpr_workgroup_info 0
		.amdhsa_system_vgpr_workitem_id 0
		.amdhsa_next_free_vgpr 150
		.amdhsa_next_free_sgpr 42
		.amdhsa_reserve_vcc 1
		.amdhsa_float_round_mode_32 0
		.amdhsa_float_round_mode_16_64 0
		.amdhsa_float_denorm_mode_32 3
		.amdhsa_float_denorm_mode_16_64 3
		.amdhsa_fp16_overflow 0
		.amdhsa_workgroup_processor_mode 1
		.amdhsa_memory_ordered 1
		.amdhsa_forward_progress 0
		.amdhsa_round_robin_scheduling 0
		.amdhsa_exception_fp_ieee_invalid_op 0
		.amdhsa_exception_fp_denorm_src 0
		.amdhsa_exception_fp_ieee_div_zero 0
		.amdhsa_exception_fp_ieee_overflow 0
		.amdhsa_exception_fp_ieee_underflow 0
		.amdhsa_exception_fp_ieee_inexact 0
		.amdhsa_exception_int_div_zero 0
	.end_amdhsa_kernel
	.text
.Lfunc_end0:
	.size	fft_rtc_fwd_len1040_factors_13_16_5_wgs_208_tpt_208_halfLds_dp_ip_CI_unitstride_sbrr_dirReg, .Lfunc_end0-fft_rtc_fwd_len1040_factors_13_16_5_wgs_208_tpt_208_halfLds_dp_ip_CI_unitstride_sbrr_dirReg
                                        ; -- End function
	.section	.AMDGPU.csdata,"",@progbits
; Kernel info:
; codeLenInByte = 8068
; NumSgprs: 44
; NumVgprs: 150
; ScratchSize: 0
; MemoryBound: 1
; FloatMode: 240
; IeeeMode: 1
; LDSByteSize: 0 bytes/workgroup (compile time only)
; SGPRBlocks: 5
; VGPRBlocks: 18
; NumSGPRsForWavesPerEU: 44
; NumVGPRsForWavesPerEU: 150
; Occupancy: 9
; WaveLimiterHint : 1
; COMPUTE_PGM_RSRC2:SCRATCH_EN: 0
; COMPUTE_PGM_RSRC2:USER_SGPR: 2
; COMPUTE_PGM_RSRC2:TRAP_HANDLER: 0
; COMPUTE_PGM_RSRC2:TGID_X_EN: 1
; COMPUTE_PGM_RSRC2:TGID_Y_EN: 0
; COMPUTE_PGM_RSRC2:TGID_Z_EN: 0
; COMPUTE_PGM_RSRC2:TIDIG_COMP_CNT: 0
	.text
	.p2alignl 7, 3214868480
	.fill 96, 4, 3214868480
	.type	__hip_cuid_812f45fb8272fe27,@object ; @__hip_cuid_812f45fb8272fe27
	.section	.bss,"aw",@nobits
	.globl	__hip_cuid_812f45fb8272fe27
__hip_cuid_812f45fb8272fe27:
	.byte	0                               ; 0x0
	.size	__hip_cuid_812f45fb8272fe27, 1

	.ident	"AMD clang version 19.0.0git (https://github.com/RadeonOpenCompute/llvm-project roc-6.4.0 25133 c7fe45cf4b819c5991fe208aaa96edf142730f1d)"
	.section	".note.GNU-stack","",@progbits
	.addrsig
	.addrsig_sym __hip_cuid_812f45fb8272fe27
	.amdgpu_metadata
---
amdhsa.kernels:
  - .args:
      - .actual_access:  read_only
        .address_space:  global
        .offset:         0
        .size:           8
        .value_kind:     global_buffer
      - .offset:         8
        .size:           8
        .value_kind:     by_value
      - .actual_access:  read_only
        .address_space:  global
        .offset:         16
        .size:           8
        .value_kind:     global_buffer
      - .actual_access:  read_only
        .address_space:  global
        .offset:         24
        .size:           8
        .value_kind:     global_buffer
      - .offset:         32
        .size:           8
        .value_kind:     by_value
      - .actual_access:  read_only
        .address_space:  global
        .offset:         40
        .size:           8
        .value_kind:     global_buffer
      - .actual_access:  read_only
        .address_space:  global
        .offset:         48
        .size:           8
        .value_kind:     global_buffer
      - .offset:         56
        .size:           4
        .value_kind:     by_value
      - .actual_access:  read_only
        .address_space:  global
        .offset:         64
        .size:           8
        .value_kind:     global_buffer
      - .actual_access:  read_only
        .address_space:  global
        .offset:         72
        .size:           8
        .value_kind:     global_buffer
      - .address_space:  global
        .offset:         80
        .size:           8
        .value_kind:     global_buffer
    .group_segment_fixed_size: 0
    .kernarg_segment_align: 8
    .kernarg_segment_size: 88
    .language:       OpenCL C
    .language_version:
      - 2
      - 0
    .max_flat_workgroup_size: 208
    .name:           fft_rtc_fwd_len1040_factors_13_16_5_wgs_208_tpt_208_halfLds_dp_ip_CI_unitstride_sbrr_dirReg
    .private_segment_fixed_size: 0
    .sgpr_count:     44
    .sgpr_spill_count: 0
    .symbol:         fft_rtc_fwd_len1040_factors_13_16_5_wgs_208_tpt_208_halfLds_dp_ip_CI_unitstride_sbrr_dirReg.kd
    .uniform_work_group_size: 1
    .uses_dynamic_stack: false
    .vgpr_count:     150
    .vgpr_spill_count: 0
    .wavefront_size: 32
    .workgroup_processor_mode: 1
amdhsa.target:   amdgcn-amd-amdhsa--gfx1201
amdhsa.version:
  - 1
  - 2
...

	.end_amdgpu_metadata
